;; amdgpu-corpus repo=ROCm/rocFFT kind=compiled arch=gfx950 opt=O3
	.text
	.amdgcn_target "amdgcn-amd-amdhsa--gfx950"
	.amdhsa_code_object_version 6
	.protected	fft_rtc_fwd_len384_factors_6_4_4_4_wgs_128_tpt_32_halfLds_sp_ip_CI_sbrr_dirReg ; -- Begin function fft_rtc_fwd_len384_factors_6_4_4_4_wgs_128_tpt_32_halfLds_sp_ip_CI_sbrr_dirReg
	.globl	fft_rtc_fwd_len384_factors_6_4_4_4_wgs_128_tpt_32_halfLds_sp_ip_CI_sbrr_dirReg
	.p2align	8
	.type	fft_rtc_fwd_len384_factors_6_4_4_4_wgs_128_tpt_32_halfLds_sp_ip_CI_sbrr_dirReg,@function
fft_rtc_fwd_len384_factors_6_4_4_4_wgs_128_tpt_32_halfLds_sp_ip_CI_sbrr_dirReg: ; @fft_rtc_fwd_len384_factors_6_4_4_4_wgs_128_tpt_32_halfLds_sp_ip_CI_sbrr_dirReg
; %bb.0:
	s_load_dwordx2 s[12:13], s[0:1], 0x18
	s_load_dwordx4 s[4:7], s[0:1], 0x0
	s_load_dwordx2 s[10:11], s[0:1], 0x50
	v_lshrrev_b32_e32 v17, 5, v0
	v_lshl_or_b32 v6, s2, 2, v17
	s_waitcnt lgkmcnt(0)
	s_load_dwordx2 s[8:9], s[12:13], 0x0
	v_mov_b32_e32 v4, 0
	v_cmp_lt_u64_e64 s[2:3], s[6:7], 2
	v_mov_b32_e32 v7, v4
	s_and_b64 vcc, exec, s[2:3]
	v_mov_b64_e32 v[2:3], 0
	s_cbranch_vccnz .LBB0_8
; %bb.1:
	s_load_dwordx2 s[2:3], s[0:1], 0x10
	s_add_u32 s14, s12, 8
	s_addc_u32 s15, s13, 0
	s_mov_b64 s[16:17], 1
	v_mov_b64_e32 v[2:3], 0
	s_waitcnt lgkmcnt(0)
	s_add_u32 s18, s2, 8
	s_addc_u32 s19, s3, 0
.LBB0_2:                                ; =>This Inner Loop Header: Depth=1
	s_load_dwordx2 s[20:21], s[18:19], 0x0
                                        ; implicit-def: $vgpr8_vgpr9
	s_waitcnt lgkmcnt(0)
	v_or_b32_e32 v5, s21, v7
	v_cmp_ne_u64_e32 vcc, 0, v[4:5]
	s_and_saveexec_b64 s[2:3], vcc
	s_xor_b64 s[22:23], exec, s[2:3]
	s_cbranch_execz .LBB0_4
; %bb.3:                                ;   in Loop: Header=BB0_2 Depth=1
	v_cvt_f32_u32_e32 v1, s20
	v_cvt_f32_u32_e32 v5, s21
	s_sub_u32 s2, 0, s20
	s_subb_u32 s3, 0, s21
	v_fmac_f32_e32 v1, 0x4f800000, v5
	v_rcp_f32_e32 v1, v1
	s_nop 0
	v_mul_f32_e32 v1, 0x5f7ffffc, v1
	v_mul_f32_e32 v5, 0x2f800000, v1
	v_trunc_f32_e32 v5, v5
	v_fmac_f32_e32 v1, 0xcf800000, v5
	v_cvt_u32_f32_e32 v5, v5
	v_cvt_u32_f32_e32 v1, v1
	v_mul_lo_u32 v8, s2, v5
	v_mul_hi_u32 v10, s2, v1
	v_mul_lo_u32 v9, s3, v1
	v_add_u32_e32 v10, v10, v8
	v_mul_lo_u32 v12, s2, v1
	v_add_u32_e32 v13, v10, v9
	v_mul_hi_u32 v8, v1, v12
	v_mul_hi_u32 v11, v1, v13
	v_mul_lo_u32 v10, v1, v13
	v_mov_b32_e32 v9, v4
	v_lshl_add_u64 v[8:9], v[8:9], 0, v[10:11]
	v_mul_hi_u32 v11, v5, v12
	v_mul_lo_u32 v12, v5, v12
	v_add_co_u32_e32 v8, vcc, v8, v12
	v_mul_hi_u32 v10, v5, v13
	s_nop 0
	v_addc_co_u32_e32 v8, vcc, v9, v11, vcc
	v_mov_b32_e32 v9, v4
	s_nop 0
	v_addc_co_u32_e32 v11, vcc, 0, v10, vcc
	v_mul_lo_u32 v10, v5, v13
	v_lshl_add_u64 v[8:9], v[8:9], 0, v[10:11]
	v_add_co_u32_e32 v1, vcc, v1, v8
	v_mul_lo_u32 v10, s2, v1
	s_nop 0
	v_addc_co_u32_e32 v5, vcc, v5, v9, vcc
	v_mul_lo_u32 v8, s2, v5
	v_mul_hi_u32 v9, s2, v1
	v_add_u32_e32 v8, v9, v8
	v_mul_lo_u32 v9, s3, v1
	v_add_u32_e32 v12, v8, v9
	v_mul_hi_u32 v14, v5, v10
	v_mul_lo_u32 v15, v5, v10
	v_mul_hi_u32 v9, v1, v12
	v_mul_lo_u32 v8, v1, v12
	v_mul_hi_u32 v10, v1, v10
	v_mov_b32_e32 v11, v4
	v_lshl_add_u64 v[8:9], v[10:11], 0, v[8:9]
	v_add_co_u32_e32 v8, vcc, v8, v15
	v_mul_hi_u32 v13, v5, v12
	s_nop 0
	v_addc_co_u32_e32 v8, vcc, v9, v14, vcc
	v_mul_lo_u32 v10, v5, v12
	s_nop 0
	v_addc_co_u32_e32 v11, vcc, 0, v13, vcc
	v_mov_b32_e32 v9, v4
	v_lshl_add_u64 v[8:9], v[8:9], 0, v[10:11]
	v_add_co_u32_e32 v1, vcc, v1, v8
	v_mul_hi_u32 v10, v6, v1
	s_nop 0
	v_addc_co_u32_e32 v5, vcc, v5, v9, vcc
	v_mad_u64_u32 v[8:9], s[2:3], v6, v5, 0
	v_mov_b32_e32 v11, v4
	v_lshl_add_u64 v[8:9], v[10:11], 0, v[8:9]
	v_mad_u64_u32 v[12:13], s[2:3], v7, v1, 0
	v_add_co_u32_e32 v1, vcc, v8, v12
	v_mad_u64_u32 v[10:11], s[2:3], v7, v5, 0
	s_nop 0
	v_addc_co_u32_e32 v8, vcc, v9, v13, vcc
	v_mov_b32_e32 v9, v4
	s_nop 0
	v_addc_co_u32_e32 v11, vcc, 0, v11, vcc
	v_lshl_add_u64 v[8:9], v[8:9], 0, v[10:11]
	v_mul_lo_u32 v1, s21, v8
	v_mul_lo_u32 v5, s20, v9
	v_mad_u64_u32 v[10:11], s[2:3], s20, v8, 0
	v_add3_u32 v1, v11, v5, v1
	v_sub_u32_e32 v5, v7, v1
	v_mov_b32_e32 v11, s21
	v_sub_co_u32_e32 v14, vcc, v6, v10
	v_lshl_add_u64 v[12:13], v[8:9], 0, 1
	s_nop 0
	v_subb_co_u32_e64 v5, s[2:3], v5, v11, vcc
	v_subrev_co_u32_e64 v10, s[2:3], s20, v14
	v_subb_co_u32_e32 v1, vcc, v7, v1, vcc
	s_nop 0
	v_subbrev_co_u32_e64 v5, s[2:3], 0, v5, s[2:3]
	v_cmp_le_u32_e64 s[2:3], s21, v5
	v_cmp_le_u32_e32 vcc, s21, v1
	s_nop 0
	v_cndmask_b32_e64 v11, 0, -1, s[2:3]
	v_cmp_le_u32_e64 s[2:3], s20, v10
	s_nop 1
	v_cndmask_b32_e64 v10, 0, -1, s[2:3]
	v_cmp_eq_u32_e64 s[2:3], s21, v5
	s_nop 1
	v_cndmask_b32_e64 v5, v11, v10, s[2:3]
	v_lshl_add_u64 v[10:11], v[8:9], 0, 2
	v_cmp_ne_u32_e64 s[2:3], 0, v5
	s_nop 1
	v_cndmask_b32_e64 v5, v13, v11, s[2:3]
	v_cndmask_b32_e64 v11, 0, -1, vcc
	v_cmp_le_u32_e32 vcc, s20, v14
	s_nop 1
	v_cndmask_b32_e64 v13, 0, -1, vcc
	v_cmp_eq_u32_e32 vcc, s21, v1
	s_nop 1
	v_cndmask_b32_e32 v1, v11, v13, vcc
	v_cmp_ne_u32_e32 vcc, 0, v1
	v_cndmask_b32_e64 v1, v12, v10, s[2:3]
	s_nop 0
	v_cndmask_b32_e32 v9, v9, v5, vcc
	v_cndmask_b32_e32 v8, v8, v1, vcc
.LBB0_4:                                ;   in Loop: Header=BB0_2 Depth=1
	s_andn2_saveexec_b64 s[2:3], s[22:23]
	s_cbranch_execz .LBB0_6
; %bb.5:                                ;   in Loop: Header=BB0_2 Depth=1
	v_cvt_f32_u32_e32 v1, s20
	s_sub_i32 s22, 0, s20
	v_rcp_iflag_f32_e32 v1, v1
	s_nop 0
	v_mul_f32_e32 v1, 0x4f7ffffe, v1
	v_cvt_u32_f32_e32 v1, v1
	v_mul_lo_u32 v5, s22, v1
	v_mul_hi_u32 v5, v1, v5
	v_add_u32_e32 v1, v1, v5
	v_mul_hi_u32 v1, v6, v1
	v_mul_lo_u32 v5, v1, s20
	v_sub_u32_e32 v5, v6, v5
	v_add_u32_e32 v8, 1, v1
	v_subrev_u32_e32 v9, s20, v5
	v_cmp_le_u32_e32 vcc, s20, v5
	s_nop 1
	v_cndmask_b32_e32 v5, v5, v9, vcc
	v_cndmask_b32_e32 v1, v1, v8, vcc
	v_add_u32_e32 v8, 1, v1
	v_cmp_le_u32_e32 vcc, s20, v5
	v_mov_b32_e32 v9, v4
	s_nop 0
	v_cndmask_b32_e32 v8, v1, v8, vcc
.LBB0_6:                                ;   in Loop: Header=BB0_2 Depth=1
	s_or_b64 exec, exec, s[2:3]
	v_mad_u64_u32 v[10:11], s[2:3], v8, s20, 0
	s_load_dwordx2 s[2:3], s[14:15], 0x0
	v_mul_lo_u32 v1, v9, s20
	v_mul_lo_u32 v5, v8, s21
	v_add3_u32 v1, v11, v5, v1
	v_sub_co_u32_e32 v5, vcc, v6, v10
	s_add_u32 s16, s16, 1
	s_nop 0
	v_subb_co_u32_e32 v1, vcc, v7, v1, vcc
	s_addc_u32 s17, s17, 0
	s_waitcnt lgkmcnt(0)
	v_mul_lo_u32 v1, s2, v1
	v_mul_lo_u32 v6, s3, v5
	v_mad_u64_u32 v[2:3], s[2:3], s2, v5, v[2:3]
	s_add_u32 s14, s14, 8
	v_add3_u32 v3, v6, v3, v1
	s_addc_u32 s15, s15, 0
	v_mov_b64_e32 v[6:7], s[6:7]
	s_add_u32 s18, s18, 8
	v_cmp_ge_u64_e32 vcc, s[16:17], v[6:7]
	s_addc_u32 s19, s19, 0
	s_cbranch_vccnz .LBB0_9
; %bb.7:                                ;   in Loop: Header=BB0_2 Depth=1
	v_mov_b64_e32 v[6:7], v[8:9]
	s_branch .LBB0_2
.LBB0_8:
	v_mov_b64_e32 v[8:9], v[6:7]
.LBB0_9:
	s_lshl_b64 s[2:3], s[6:7], 3
	s_add_u32 s2, s12, s2
	s_addc_u32 s3, s13, s3
	s_load_dwordx2 s[6:7], s[2:3], 0x0
	s_load_dwordx2 s[12:13], s[0:1], 0x20
	v_and_b32_e32 v29, 31, v0
	v_or_b32_e32 v31, 32, v29
	v_or_b32_e32 v30, 64, v29
	s_waitcnt lgkmcnt(0)
	v_mul_lo_u32 v1, s6, v9
	v_mul_lo_u32 v4, s7, v8
	v_mad_u64_u32 v[2:3], s[0:1], s6, v8, v[2:3]
	v_add3_u32 v3, v4, v3, v1
	v_cmp_gt_u64_e32 vcc, s[12:13], v[8:9]
	v_cmp_le_u64_e64 s[0:1], s[12:13], v[8:9]
                                        ; implicit-def: $vgpr32
                                        ; implicit-def: $vgpr33
	s_and_saveexec_b64 s[2:3], s[0:1]
	s_xor_b64 s[0:1], exec, s[2:3]
; %bb.10:
	v_or_b32_e32 v32, 32, v29
	v_or_b32_e32 v33, 64, v29
; %bb.11:
	s_or_saveexec_b64 s[0:1], s[0:1]
	v_lshl_add_u64 v[0:1], v[2:3], 3, s[10:11]
                                        ; implicit-def: $vgpr24
                                        ; implicit-def: $vgpr26
                                        ; implicit-def: $vgpr12
                                        ; implicit-def: $vgpr6
                                        ; implicit-def: $vgpr8
                                        ; implicit-def: $vgpr22
                                        ; implicit-def: $vgpr2
                                        ; implicit-def: $vgpr16
                                        ; implicit-def: $vgpr4
                                        ; implicit-def: $vgpr10
                                        ; implicit-def: $vgpr20
                                        ; implicit-def: $vgpr28
                                        ; implicit-def: $vgpr14
                                        ; implicit-def: $vgpr18
	s_xor_b64 exec, exec, s[0:1]
	s_cbranch_execz .LBB0_13
; %bb.12:
	v_mad_u64_u32 v[2:3], s[2:3], s8, v29, 0
	v_mov_b32_e32 v4, v3
	v_mad_u64_u32 v[4:5], s[2:3], s9, v29, v[4:5]
	v_mov_b32_e32 v3, v4
	;; [unrolled: 2-line block ×4, first 2 shown]
	v_or_b32_e32 v7, 0x80, v29
	v_lshl_add_u64 v[8:9], v[4:5], 3, v[0:1]
	v_mad_u64_u32 v[4:5], s[2:3], s8, v7, 0
	v_mov_b32_e32 v6, v5
	v_mad_u64_u32 v[6:7], s[2:3], s9, v7, v[6:7]
	v_mov_b32_e32 v5, v6
	v_or_b32_e32 v7, 0xc0, v29
	v_lshl_add_u64 v[10:11], v[4:5], 3, v[0:1]
	v_mad_u64_u32 v[4:5], s[2:3], s8, v7, 0
	v_mov_b32_e32 v6, v5
	v_mad_u64_u32 v[6:7], s[2:3], s9, v7, v[6:7]
	v_mov_b32_e32 v5, v6
	;; [unrolled: 6-line block ×3, first 2 shown]
	v_or_b32_e32 v7, 0x140, v29
	v_lshl_add_u64 v[32:33], v[4:5], 3, v[0:1]
	v_mad_u64_u32 v[4:5], s[2:3], s8, v7, 0
	v_mov_b32_e32 v6, v5
	v_mad_u64_u32 v[6:7], s[2:3], s9, v7, v[6:7]
	v_lshl_add_u64 v[2:3], v[2:3], 3, v[0:1]
	v_mov_b32_e32 v5, v6
	global_load_dwordx2 v[2:3], v[2:3], off
	v_lshl_add_u64 v[34:35], v[4:5], 3, v[0:1]
	global_load_dwordx2 v[22:23], v[12:13], off
	global_load_dwordx2 v[4:5], v[10:11], off
	;; [unrolled: 1-line block ×3, first 2 shown]
	v_mad_u64_u32 v[8:9], s[2:3], s8, v31, 0
	v_mov_b32_e32 v10, v9
	v_mad_u64_u32 v[10:11], s[2:3], s9, v31, v[10:11]
	v_mov_b32_e32 v9, v10
	v_or_b32_e32 v11, 0x60, v29
	v_lshl_add_u64 v[36:37], v[8:9], 3, v[0:1]
	v_mad_u64_u32 v[8:9], s[2:3], s8, v11, 0
	v_mov_b32_e32 v10, v9
	v_mad_u64_u32 v[10:11], s[2:3], s9, v11, v[10:11]
	v_mov_b32_e32 v9, v10
	v_or_b32_e32 v11, 0xa0, v29
	v_lshl_add_u64 v[38:39], v[8:9], 3, v[0:1]
	v_mad_u64_u32 v[8:9], s[2:3], s8, v11, 0
	v_mov_b32_e32 v10, v9
	v_mad_u64_u32 v[10:11], s[2:3], s9, v11, v[10:11]
	v_mov_b32_e32 v9, v10
	v_lshl_add_u64 v[8:9], v[8:9], 3, v[0:1]
	v_or_b32_e32 v11, 0xe0, v29
	global_load_dwordx2 v[14:15], v[8:9], off
	v_mad_u64_u32 v[8:9], s[2:3], s8, v11, 0
	v_mov_b32_e32 v10, v9
	v_mad_u64_u32 v[10:11], s[2:3], s9, v11, v[10:11]
	v_mov_b32_e32 v9, v10
	v_or_b32_e32 v11, 0x120, v29
	v_lshl_add_u64 v[40:41], v[8:9], 3, v[0:1]
	v_mad_u64_u32 v[8:9], s[2:3], s8, v11, 0
	v_mov_b32_e32 v10, v9
	v_mad_u64_u32 v[10:11], s[2:3], s9, v11, v[10:11]
	v_mov_b32_e32 v9, v10
	v_or_b32_e32 v11, 0x160, v29
	v_lshl_add_u64 v[42:43], v[8:9], 3, v[0:1]
	v_mad_u64_u32 v[8:9], s[2:3], s8, v11, 0
	v_mov_b32_e32 v10, v9
	v_mad_u64_u32 v[10:11], s[2:3], s9, v11, v[10:11]
	v_mov_b32_e32 v9, v10
	v_lshl_add_u64 v[44:45], v[8:9], 3, v[0:1]
	global_load_dwordx2 v[10:11], v[32:33], off
	global_load_dwordx2 v[8:9], v[34:35], off
	;; [unrolled: 1-line block ×7, first 2 shown]
	v_mov_b32_e32 v33, v30
	v_mov_b32_e32 v32, v31
	s_waitcnt vmcnt(11)
	v_mov_b32_e32 v16, v3
	s_waitcnt vmcnt(4)
	v_mov_b32_e32 v28, v21
.LBB0_13:
	s_or_b64 exec, exec, s[0:1]
	v_pk_add_f32 v[34:35], v[4:5], v[10:11]
	v_pk_add_f32 v[36:37], v[4:5], v[10:11] neg_lo:[0,1] neg_hi:[0,1]
	v_pk_add_f32 v[40:41], v[6:7], v[22:23]
	v_pk_add_f32 v[42:43], v[8:9], v[22:23]
	v_pk_add_f32 v[44:45], v[22:23], v[8:9] neg_lo:[0,1] neg_hi:[0,1]
	s_waitcnt vmcnt(1)
	v_pk_add_f32 v[22:23], v[14:15], v[18:19]
	v_mul_u32_u24_e32 v3, 0x180, v17
	v_mul_f32_e32 v62, 0.5, v34
	s_mov_b32 s2, 0x3f5db3d7
	v_mul_f32_e32 v35, 0.5, v35
	v_mul_f32_e32 v39, 0x3f5db3d7, v36
	v_mul_f32_e32 v36, 0.5, v22
	v_pk_add_f32 v[46:47], v[14:15], v[18:19] neg_lo:[0,1] neg_hi:[0,1]
	v_mul_f32_e32 v23, 0.5, v23
	s_waitcnt vmcnt(0)
	v_pk_add_f32 v[50:51], v[26:27], v[24:25]
	v_pk_add_f32 v[52:53], v[26:27], v[12:13]
	v_pk_add_f32 v[26:27], v[26:27], v[12:13] neg_lo:[0,1] neg_hi:[0,1]
	v_mov_b32_e32 v34, v15
	v_mov_b32_e32 v22, v15
	s_movk_i32 s3, 0xffec
	s_mov_b32 s0, 0xbf5db3d7
	v_mul_f32_e32 v49, 0x3f5db3d7, v46
	v_lshl_add_u32 v17, v3, 2, 0
	v_pk_add_f32 v[54:55], v[28:29], v[34:35] op_sel_hi:[0,1]
	v_pk_add_f32 v[22:23], v[28:29], v[22:23] op_sel_hi:[0,1] neg_lo:[0,1] neg_hi:[0,1]
	v_mov_b32_e32 v48, v19
	v_pk_fma_f32 v[24:25], v[52:53], 0.5, v[24:25] op_sel_hi:[1,0,1] neg_lo:[1,0,0] neg_hi:[1,0,0]
	v_pk_mul_f32 v[26:27], v[26:27], s[2:3] op_sel_hi:[1,0]
	v_mov_b32_e32 v15, v36
	s_mov_b32 s1, 0.5
	v_mul_f32_e32 v38, 0x3f5db3d7, v47
	v_mad_u32_u24 v64, v29, 24, v17
	v_mad_i32_i24 v65, v32, 24, v17
	v_pk_add_f32 v[54:55], v[54:55], v[48:49]
	v_pk_add_f32 v[56:57], v[22:23], v[48:49] neg_lo:[0,1] neg_hi:[0,1]
	v_mov_b32_e32 v48, v49
	v_mov_b32_e32 v49, v51
	;; [unrolled: 1-line block ×4, first 2 shown]
	v_pk_add_f32 v[52:53], v[24:25], v[26:27] op_sel:[0,1] op_sel_hi:[1,0] neg_lo:[0,1] neg_hi:[0,1]
	v_pk_add_f32 v[26:27], v[26:27], v[24:25] op_sel:[1,0] op_sel_hi:[0,1]
	v_pk_add_f32 v[58:59], v[20:21], v[14:15]
	v_pk_add_f32 v[14:15], v[20:21], v[14:15] op_sel_hi:[0,1] neg_lo:[0,1] neg_hi:[0,1]
	v_pk_add_f32 v[48:49], v[48:49], v[22:23]
	v_mad_i32_i24 v23, v29, s3, v64
	v_mad_i32_i24 v24, v32, s3, v65
	v_mul_f32_e32 v13, 0x3f5db3d7, v53
	s_mov_b32 s3, s1
	v_mul_f32_e32 v3, 0.5, v52
	v_mul_f32_e32 v51, 0.5, v26
	v_mov_b32_e32 v19, v38
	v_mov_b32_e32 v59, v15
	v_pk_mul_f32 v[20:21], v[26:27], s[2:3]
	v_fma_f32 v26, v27, s2, -v3
	v_pk_add_f32 v[18:19], v[58:59], v[18:19]
	v_fmac_f32_e32 v15, 0xbf5db3d7, v47
	v_pk_add_f32 v[12:13], v[12:13], v[50:51]
	v_mov_b32_e32 v14, v19
	v_pk_add_f32 v[46:47], v[18:19], v[12:13]
	v_mov_b32_e32 v27, v12
	v_mov_b32_e32 v51, v18
	;; [unrolled: 1-line block ×3, first 2 shown]
	v_pk_add_f32 v[18:19], v[18:19], v[12:13] op_sel:[1,1] op_sel_hi:[0,0] neg_lo:[0,1] neg_hi:[0,1]
	v_mov_b32_e32 v12, v13
	v_mov_b32_e32 v13, v26
	;; [unrolled: 1-line block ×3, first 2 shown]
	v_pk_add_f32 v[50:51], v[50:51], v[26:27]
	v_pk_add_f32 v[12:13], v[14:15], v[12:13] neg_lo:[0,1] neg_hi:[0,1]
	v_pk_add_f32 v[14:15], v[16:17], v[34:35] op_sel_hi:[0,1] neg_lo:[0,1] neg_hi:[0,1]
	v_mov_b32_e32 v38, v11
	v_mov_b32_e32 v51, v19
	v_pk_add_f32 v[18:19], v[14:15], v[38:39] neg_lo:[0,1] neg_hi:[0,1]
	v_mov_b32_e32 v26, v39
	v_mov_b32_e32 v27, v41
	v_mov_b32_e32 v14, v15
	v_mov_b32_e32 v15, v9
	v_pk_add_f32 v[14:15], v[26:27], v[14:15]
	v_pk_fma_f32 v[6:7], v[42:43], 0.5, v[6:7] op_sel_hi:[1,0,1] neg_lo:[1,0,0] neg_hi:[1,0,0]
	v_pk_mul_f32 v[26:27], v[44:45], s[2:3] op_sel_hi:[1,0]
	ds_write_b64 v65, v[12:13] offset:16
	v_pk_add_f32 v[34:35], v[6:7], v[26:27] op_sel:[0,1] op_sel_hi:[1,0] neg_lo:[0,1] neg_hi:[0,1]
	v_mov_b32_e32 v12, v5
	v_pk_add_f32 v[6:7], v[26:27], v[6:7] op_sel:[1,0] op_sel_hi:[0,1]
	v_mul_f32_e32 v5, 0.5, v34
	v_mov_b32_e32 v3, v54
	v_mul_f32_e32 v41, 0.5, v6
	v_fma_f32 v26, v7, s2, -v5
	v_pk_mul_f32 v[6:7], v[6:7], s[2:3]
	v_mov_b32_e32 v5, v62
	v_mul_f32_e32 v63, 0x3f5db3d7, v37
	v_mul_f32_e32 v9, 0x3f5db3d7, v35
	v_pk_fma_f32 v[6:7], v[34:35], s[0:1], v[6:7] op_sel:[0,0,1] op_sel_hi:[1,1,0] neg_lo:[0,0,1] neg_hi:[0,0,1]
	v_pk_add_f32 v[34:35], v[2:3], v[4:5]
	v_pk_add_f32 v[4:5], v[2:3], v[4:5] op_sel_hi:[0,1] neg_lo:[0,1] neg_hi:[0,1]
	v_mov_b32_e32 v35, v5
	v_mov_b32_e32 v11, v63
	v_pk_add_f32 v[10:11], v[34:35], v[10:11]
	v_fmac_f32_e32 v5, 0xbf5db3d7, v37
	v_pk_add_f32 v[8:9], v[8:9], v[40:41]
	v_pk_add_f32 v[12:13], v[16:17], v[12:13] op_sel_hi:[0,1]
	v_mov_b32_e32 v36, v5
	v_mov_b32_e32 v37, v10
	;; [unrolled: 1-line block ×3, first 2 shown]
	v_pk_add_f32 v[12:13], v[12:13], v[38:39]
	v_pk_add_f32 v[34:35], v[10:11], v[8:9]
	v_mov_b32_e32 v38, v9
	v_pk_add_f32 v[36:37], v[36:37], v[26:27]
	v_pk_add_f32 v[8:9], v[10:11], v[8:9] op_sel:[1,1] op_sel_hi:[0,0] neg_lo:[0,1] neg_hi:[0,1]
	v_pk_fma_f32 v[60:61], v[52:53], s[0:1], v[20:21] op_sel:[0,0,1] op_sel_hi:[1,1,0] neg_lo:[0,0,1] neg_hi:[0,0,1]
	v_lshl_add_u32 v20, v33, 2, v17
	v_mov_b32_e32 v13, v19
	v_mov_b32_e32 v21, v12
	v_mov_b32_e32 v4, v11
	v_mov_b32_e32 v37, v9
	v_mov_b32_e32 v39, v26
	v_mov_b32_e32 v10, v15
	v_mov_b32_e32 v11, v7
	ds_write2_b64 v65, v[46:47], v[50:51] offset1:1
	ds_write2_b64 v64, v[34:35], v[36:37] offset1:1
	v_pk_add_f32 v[4:5], v[4:5], v[38:39] neg_lo:[0,1] neg_hi:[0,1]
	v_pk_add_f32 v[10:11], v[12:13], v[10:11]
	v_pk_add_f32 v[12:13], v[6:7], v[14:15]
	v_pk_add_f32 v[34:35], v[20:21], v[14:15] neg_lo:[0,1] neg_hi:[0,1]
	v_mov_b32_e32 v15, v19
	v_lshl_add_u32 v22, v29, 2, v17
	ds_write_b64 v64, v[4:5] offset:16
	v_add_u32_e32 v9, 0x400, v23
	v_add_u32_e32 v5, 0x200, v23
	v_pk_add_f32 v[6:7], v[14:15], v[6:7] neg_lo:[0,1] neg_hi:[0,1]
	v_mov_b32_e32 v13, v35
	s_waitcnt lgkmcnt(0)
	s_barrier
	ds_read_b32 v4, v22
	ds_read2_b32 v[26:27], v23 offset0:96 offset1:128
	ds_read2_b32 v[42:43], v23 offset0:160 offset1:192
	;; [unrolled: 1-line block ×4, first 2 shown]
	ds_read_b32 v8, v20
	ds_read_b32 v16, v24
	ds_read_b32 v25, v23 offset:1408
	s_waitcnt lgkmcnt(0)
	s_barrier
	ds_write2_b64 v64, v[10:11], v[12:13] offset1:1
	v_mov_b32_e32 v10, v7
	v_mov_b32_e32 v11, v6
	ds_write_b64 v64, v[10:11] offset:16
	v_mov_b32_e32 v6, v49
	v_pk_add_f32 v[10:11], v[60:61], v[48:49]
	v_pk_add_f32 v[2:3], v[2:3], v[48:49] neg_lo:[0,1] neg_hi:[0,1]
	v_mov_b32_e32 v49, v57
	v_pk_add_f32 v[12:13], v[48:49], v[60:61] neg_lo:[0,1] neg_hi:[0,1]
	v_mov_b32_e32 v11, v3
	v_mov_b32_e32 v2, v13
	;; [unrolled: 1-line block ×3, first 2 shown]
	ds_write_b64 v65, v[2:3] offset:16
	v_mul_lo_u16_e32 v21, 43, v29
	v_mov_b32_e32 v2, 6
	v_mul_lo_u16_sdwa v2, v21, v2 dst_sel:DWORD dst_unused:UNUSED_PAD src0_sel:BYTE_1 src1_sel:DWORD
	v_sub_u16_e32 v28, v29, v2
	v_mov_b32_e32 v55, v57
	v_mov_b32_e32 v7, v61
	v_mul_lo_u16_e32 v2, 3, v28
	v_mov_b32_e32 v52, 3
	v_pk_add_f32 v[6:7], v[54:55], v[6:7]
	v_lshlrev_b32_sdwa v14, v52, v2 dst_sel:DWORD dst_unused:UNUSED_PAD src0_sel:DWORD src1_sel:BYTE_0
	s_movk_i32 s0, 0xab
	ds_write2_b64 v65, v[6:7], v[10:11] offset1:1
	s_waitcnt lgkmcnt(0)
	s_barrier
	global_load_dwordx4 v[10:13], v14, s[4:5]
	v_mul_lo_u16_sdwa v53, v32, s0 dst_sel:DWORD dst_unused:UNUSED_PAD src0_sel:BYTE_0 src1_sel:DWORD
	v_lshrrev_b16_e32 v54, 10, v53
	v_mul_lo_u16_e32 v2, 6, v54
	v_sub_u16_e32 v55, v32, v2
	v_mul_u32_u24_sdwa v2, v55, v52 dst_sel:DWORD dst_unused:UNUSED_PAD src0_sel:BYTE_0 src1_sel:DWORD
	v_lshlrev_b32_e32 v15, 3, v2
	global_load_dwordx4 v[34:37], v15, s[4:5]
	global_load_dwordx2 v[2:3], v14, s[4:5] offset:16
	global_load_dwordx2 v[6:7], v15, s[4:5] offset:16
	v_mul_lo_u16_sdwa v56, v33, s0 dst_sel:DWORD dst_unused:UNUSED_PAD src0_sel:BYTE_0 src1_sel:DWORD
	v_lshrrev_b16_e32 v57, 10, v56
	v_mul_lo_u16_e32 v14, 6, v57
	v_sub_u16_e32 v58, v33, v14
	v_mul_u32_u24_sdwa v14, v58, v52 dst_sel:DWORD dst_unused:UNUSED_PAD src0_sel:BYTE_0 src1_sel:DWORD
	v_lshlrev_b32_e32 v18, 3, v14
	global_load_dwordx4 v[38:41], v18, s[4:5]
	global_load_dwordx2 v[14:15], v18, s[4:5] offset:16
	ds_read2_b32 v[18:19], v23 offset0:96 offset1:128
	ds_read_b32 v59, v22
	ds_read2_b32 v[48:49], v23 offset0:160 offset1:192
	ds_read2_b32 v[50:51], v9 offset0:32 offset1:64
	v_cmp_gt_u32_e64 s[0:1], 24, v29
	s_waitcnt vmcnt(5) lgkmcnt(3)
	v_mul_f32_e32 v60, v18, v11
	v_fma_f32 v60, v26, v10, -v60
	v_mul_f32_e32 v26, v26, v11
	v_fmac_f32_e32 v26, v18, v10
	s_waitcnt lgkmcnt(1)
	v_mul_f32_e32 v10, v49, v13
	v_mul_f32_e32 v13, v43, v13
	v_fma_f32 v18, v43, v12, -v10
	v_fmac_f32_e32 v13, v49, v12
	ds_read2_b32 v[10:11], v5 offset0:96 offset1:128
	ds_read_b32 v12, v20
	s_waitcnt vmcnt(4)
	v_mul_f32_e32 v43, v19, v35
	v_fma_f32 v43, v27, v34, -v43
	v_mul_f32_e32 v27, v27, v35
	v_fmac_f32_e32 v27, v19, v34
	v_mul_f32_e32 v34, v46, v37
	s_waitcnt lgkmcnt(1)
	v_mul_f32_e32 v19, v10, v37
	v_fmac_f32_e32 v34, v10, v36
	ds_read_b32 v10, v24
	ds_read_b32 v35, v23 offset:1408
	v_fma_f32 v19, v46, v36, -v19
	s_waitcnt vmcnt(3)
	v_mul_f32_e32 v36, v50, v3
	v_mul_f32_e32 v3, v44, v3
	v_fma_f32 v36, v44, v2, -v36
	v_fmac_f32_e32 v3, v50, v2
	s_waitcnt vmcnt(2)
	v_mul_f32_e32 v2, v51, v7
	v_mul_f32_e32 v7, v45, v7
	v_fma_f32 v2, v45, v6, -v2
	v_fmac_f32_e32 v7, v51, v6
	s_waitcnt vmcnt(1)
	v_mul_f32_e32 v6, v48, v39
	v_mul_f32_e32 v37, v42, v39
	;; [unrolled: 1-line block ×3, first 2 shown]
	v_fma_f32 v6, v42, v38, -v6
	v_fmac_f32_e32 v37, v48, v38
	v_mul_f32_e32 v38, v11, v41
	v_fmac_f32_e32 v39, v11, v40
	s_waitcnt vmcnt(0) lgkmcnt(0)
	v_mul_f32_e32 v11, v35, v15
	v_mul_f32_e32 v15, v25, v15
	v_sub_f32_e32 v13, v59, v13
	v_sub_f32_e32 v3, v26, v3
	v_fma_f32 v11, v25, v14, -v11
	v_fmac_f32_e32 v15, v35, v14
	v_sub_f32_e32 v14, v4, v18
	v_fma_f32 v18, v59, 2.0, -v13
	v_fma_f32 v26, v26, 2.0, -v3
	v_sub_f32_e32 v25, v60, v36
	v_sub_f32_e32 v36, v18, v26
	v_fma_f32 v38, v47, v40, -v38
	v_fma_f32 v40, v18, 2.0, -v36
	v_sub_f32_e32 v18, v16, v19
	v_sub_f32_e32 v19, v10, v34
	;; [unrolled: 1-line block ×3, first 2 shown]
	v_fma_f32 v10, v10, 2.0, -v19
	v_fma_f32 v27, v27, 2.0, -v7
	v_sub_f32_e32 v2, v43, v2
	v_sub_f32_e32 v34, v10, v27
	v_sub_f32_e32 v27, v12, v39
	v_sub_f32_e32 v11, v6, v11
	v_fma_f32 v26, v43, 2.0, -v2
	v_add_f32_e32 v2, v19, v2
	v_fma_f32 v6, v6, 2.0, -v11
	v_add_f32_e32 v11, v27, v11
	v_fma_f32 v41, v19, 2.0, -v2
	v_sub_f32_e32 v19, v8, v38
	v_fma_f32 v12, v12, 2.0, -v27
	v_fma_f32 v38, v27, 2.0, -v11
	v_mov_b32_e32 v27, 24
	v_mul_lo_u16_sdwa v21, v21, v27 dst_sel:DWORD dst_unused:UNUSED_PAD src0_sel:BYTE_1 src1_sel:DWORD
	v_fma_f32 v4, v4, 2.0, -v14
	v_fma_f32 v35, v60, 2.0, -v25
	v_or_b32_e32 v21, v21, v28
	v_sub_f32_e32 v35, v4, v35
	v_sub_f32_e32 v3, v14, v3
	v_and_b32_e32 v21, 0xff, v21
	v_fma_f32 v4, v4, 2.0, -v35
	v_fma_f32 v14, v14, 2.0, -v3
	v_lshl_add_u32 v21, v21, 2, v17
	v_fma_f32 v16, v16, 2.0, -v18
	v_fma_f32 v8, v8, 2.0, -v19
	v_sub_f32_e32 v15, v37, v15
	s_barrier
	ds_write2_b32 v21, v4, v14 offset1:6
	ds_write2_b32 v21, v35, v3 offset0:12 offset1:18
	v_mul_u32_u24_e32 v3, 24, v54
	v_mul_u32_u24_e32 v4, 24, v57
	v_add_f32_e32 v25, v13, v25
	v_sub_f32_e32 v26, v16, v26
	v_sub_f32_e32 v7, v18, v7
	v_fma_f32 v37, v37, 2.0, -v15
	v_sub_f32_e32 v6, v8, v6
	v_sub_f32_e32 v15, v19, v15
	v_or_b32_sdwa v3, v3, v55 dst_sel:DWORD dst_unused:UNUSED_PAD src0_sel:DWORD src1_sel:BYTE_0
	v_or_b32_sdwa v4, v4, v58 dst_sel:DWORD dst_unused:UNUSED_PAD src0_sel:DWORD src1_sel:BYTE_0
	v_fma_f32 v13, v13, 2.0, -v25
	v_fma_f32 v16, v16, 2.0, -v26
	;; [unrolled: 1-line block ×3, first 2 shown]
	v_sub_f32_e32 v37, v12, v37
	v_fma_f32 v8, v8, 2.0, -v6
	v_fma_f32 v19, v19, 2.0, -v15
	v_lshl_add_u32 v3, v3, 2, v17
	v_lshl_add_u32 v4, v4, 2, v17
	v_fma_f32 v10, v10, 2.0, -v34
	v_fma_f32 v12, v12, 2.0, -v37
	ds_write2_b32 v3, v16, v18 offset1:6
	ds_write2_b32 v3, v26, v7 offset0:12 offset1:18
	ds_write2_b32 v4, v8, v19 offset1:6
	ds_write2_b32 v4, v6, v15 offset0:12 offset1:18
	s_waitcnt lgkmcnt(0)
	s_barrier
	ds_read_b32 v8, v22
	ds_read2_b32 v[6:7], v23 offset0:96 offset1:128
	ds_read2_b32 v[14:15], v23 offset0:160 offset1:192
	;; [unrolled: 1-line block ×4, first 2 shown]
	ds_read_b32 v16, v20
	ds_read_b32 v28, v24
	ds_read_b32 v57, v23 offset:1408
	s_waitcnt lgkmcnt(0)
	s_barrier
	ds_write2_b32 v21, v40, v13 offset1:6
	ds_write2_b32 v21, v36, v25 offset0:12 offset1:18
	ds_write2_b32 v3, v10, v41 offset1:6
	ds_write2_b32 v3, v34, v2 offset0:12 offset1:18
	;; [unrolled: 2-line block ×3, first 2 shown]
	v_subrev_u32_e32 v2, 24, v29
	v_cndmask_b32_e64 v4, v2, v29, s[0:1]
	v_mul_i32_i24_e32 v2, 3, v4
	v_mov_b32_e32 v3, 0
	v_lshl_add_u64 v[34:35], v[2:3], 3, s[4:5]
	v_lshrrev_b16_e32 v2, 12, v53
	v_mul_lo_u16_e32 v21, 24, v2
	v_sub_u16_e32 v21, v32, v21
	v_mul_u32_u24_sdwa v25, v21, v52 dst_sel:DWORD dst_unused:UNUSED_PAD src0_sel:BYTE_0 src1_sel:DWORD
	s_waitcnt lgkmcnt(0)
	s_barrier
	global_load_dwordx4 v[10:13], v[34:35], off offset:144
	global_load_dwordx2 v[42:43], v[34:35], off offset:160
	v_lshlrev_b32_e32 v25, 3, v25
	global_load_dwordx4 v[34:37], v25, s[4:5] offset:144
	global_load_dwordx2 v[44:45], v25, s[4:5] offset:160
	v_lshrrev_b16_e32 v25, 12, v56
	v_mul_lo_u16_e32 v38, 24, v25
	v_sub_u16_e32 v56, v33, v38
	v_mul_u32_u24_sdwa v38, v56, v52 dst_sel:DWORD dst_unused:UNUSED_PAD src0_sel:BYTE_0 src1_sel:DWORD
	v_lshlrev_b32_e32 v48, 3, v38
	global_load_dwordx4 v[38:41], v48, s[4:5] offset:144
	global_load_dwordx2 v[46:47], v48, s[4:5] offset:160
	ds_read2_b32 v[48:49], v23 offset0:96 offset1:128
	ds_read_b32 v58, v22
	ds_read2_b32 v[50:51], v23 offset0:160 offset1:192
	ds_read2_b32 v[52:53], v9 offset0:32 offset1:64
	;; [unrolled: 1-line block ×3, first 2 shown]
	v_cmp_lt_u32_e64 s[0:1], 23, v29
	v_mul_u32_u24_e32 v2, 0x60, v2
	v_or_b32_sdwa v2, v2, v21 dst_sel:DWORD dst_unused:UNUSED_PAD src0_sel:DWORD src1_sel:BYTE_0
	v_lshl_add_u32 v2, v2, 2, v17
	s_waitcnt vmcnt(5) lgkmcnt(4)
	v_mul_f32_e32 v59, v48, v11
	v_fma_f32 v59, v6, v10, -v59
	v_mul_f32_e32 v6, v6, v11
	v_fmac_f32_e32 v6, v48, v10
	s_waitcnt lgkmcnt(2)
	v_mul_f32_e32 v10, v51, v13
	v_fma_f32 v10, v15, v12, -v10
	v_mul_f32_e32 v11, v15, v13
	s_waitcnt vmcnt(4) lgkmcnt(1)
	v_mul_f32_e32 v13, v52, v43
	v_mul_f32_e32 v15, v18, v43
	s_waitcnt vmcnt(3)
	v_mul_f32_e32 v43, v49, v35
	v_fmac_f32_e32 v11, v51, v12
	ds_read_b32 v12, v20
	v_fma_f32 v13, v18, v42, -v13
	v_fmac_f32_e32 v15, v52, v42
	ds_read_b32 v18, v24
	ds_read_b32 v42, v23 offset:1408
	v_fma_f32 v43, v7, v34, -v43
	v_mul_f32_e32 v7, v7, v35
	v_fmac_f32_e32 v7, v49, v34
	s_waitcnt lgkmcnt(3)
	v_mul_f32_e32 v34, v54, v37
	v_fma_f32 v34, v26, v36, -v34
	v_mul_f32_e32 v26, v26, v37
	s_waitcnt vmcnt(2)
	v_mul_f32_e32 v35, v53, v45
	s_waitcnt vmcnt(1)
	v_mul_f32_e32 v37, v55, v41
	v_sub_f32_e32 v10, v8, v10
	v_sub_f32_e32 v11, v58, v11
	v_sub_f32_e32 v13, v59, v13
	v_fmac_f32_e32 v26, v54, v36
	v_fma_f32 v35, v19, v44, -v35
	v_mul_f32_e32 v19, v19, v45
	v_mul_f32_e32 v36, v50, v39
	v_fma_f32 v37, v27, v40, -v37
	v_mul_f32_e32 v27, v27, v41
	v_fma_f32 v8, v8, 2.0, -v10
	v_sub_f32_e32 v15, v6, v15
	v_fma_f32 v41, v59, 2.0, -v13
	v_add_f32_e32 v13, v11, v13
	v_fmac_f32_e32 v19, v53, v44
	v_fma_f32 v36, v14, v38, -v36
	v_mul_f32_e32 v14, v14, v39
	v_fmac_f32_e32 v27, v55, v40
	s_waitcnt vmcnt(0)
	v_mul_f32_e32 v39, v57, v47
	v_fma_f32 v40, v58, 2.0, -v11
	v_fma_f32 v6, v6, 2.0, -v15
	v_sub_f32_e32 v41, v8, v41
	v_fma_f32 v44, v11, 2.0, -v13
	v_sub_f32_e32 v11, v28, v34
	v_fmac_f32_e32 v14, v50, v38
	s_waitcnt lgkmcnt(0)
	v_mul_f32_e32 v38, v42, v47
	v_fmac_f32_e32 v39, v42, v46
	v_sub_f32_e32 v42, v40, v6
	v_fma_f32 v6, v8, 2.0, -v41
	v_sub_f32_e32 v8, v10, v15
	v_sub_f32_e32 v15, v18, v26
	v_fma_f32 v26, v28, 2.0, -v11
	v_sub_f32_e32 v28, v43, v35
	v_sub_f32_e32 v19, v7, v19
	v_fma_f32 v18, v18, 2.0, -v15
	v_fma_f32 v34, v43, 2.0, -v28
	;; [unrolled: 1-line block ×3, first 2 shown]
	v_sub_f32_e32 v34, v26, v34
	v_sub_f32_e32 v35, v18, v7
	v_fma_f32 v38, v57, v46, -v38
	v_fma_f32 v7, v26, 2.0, -v34
	v_fma_f32 v26, v18, 2.0, -v35
	v_sub_f32_e32 v18, v11, v19
	v_add_f32_e32 v19, v15, v28
	v_fma_f32 v28, v15, 2.0, -v19
	v_sub_f32_e32 v15, v16, v37
	v_sub_f32_e32 v37, v36, v38
	;; [unrolled: 1-line block ×3, first 2 shown]
	v_fma_f32 v16, v16, 2.0, -v15
	v_sub_f32_e32 v38, v14, v39
	v_fma_f32 v36, v36, 2.0, -v37
	v_fma_f32 v12, v12, 2.0, -v27
	;; [unrolled: 1-line block ×3, first 2 shown]
	v_sub_f32_e32 v36, v16, v36
	v_sub_f32_e32 v39, v12, v14
	v_fma_f32 v14, v16, 2.0, -v36
	v_mov_b32_e32 v16, 0x60
	v_cndmask_b32_e64 v16, 0, v16, s[0:1]
	v_or_b32_e32 v4, v16, v4
	v_fma_f32 v43, v12, 2.0, -v39
	v_sub_f32_e32 v12, v15, v38
	v_lshl_add_u32 v38, v4, 2, v17
	v_mul_u32_u24_e32 v4, 0x60, v25
	v_or_b32_sdwa v4, v4, v56 dst_sel:DWORD dst_unused:UNUSED_PAD src0_sel:DWORD src1_sel:BYTE_0
	v_fma_f32 v10, v10, 2.0, -v8
	v_fma_f32 v11, v11, 2.0, -v18
	;; [unrolled: 1-line block ×3, first 2 shown]
	v_lshl_add_u32 v21, v4, 2, v17
	s_barrier
	ds_write2_b32 v38, v6, v10 offset1:24
	ds_write2_b32 v38, v41, v8 offset0:48 offset1:72
	ds_write2_b32 v2, v7, v11 offset1:24
	ds_write2_b32 v2, v34, v18 offset0:48 offset1:72
	;; [unrolled: 2-line block ×3, first 2 shown]
	s_waitcnt lgkmcnt(0)
	s_barrier
	ds_read_b32 v18, v22
	ds_read2_b32 v[14:15], v23 offset0:96 offset1:128
	ds_read2_b32 v[6:7], v23 offset0:160 offset1:192
	;; [unrolled: 1-line block ×4, first 2 shown]
	ds_read_b32 v4, v20
	ds_read_b32 v12, v24
	ds_read_b32 v8, v23 offset:1408
	v_fma_f32 v40, v40, 2.0, -v42
	v_add_f32_e32 v37, v27, v37
	v_fma_f32 v27, v27, 2.0, -v37
	s_waitcnt lgkmcnt(0)
	s_barrier
	ds_write2_b32 v38, v40, v44 offset1:24
	ds_write2_b32 v38, v42, v13 offset0:48 offset1:72
	ds_write2_b32 v2, v26, v28 offset1:24
	ds_write2_b32 v2, v35, v19 offset0:48 offset1:72
	;; [unrolled: 2-line block ×3, first 2 shown]
	s_waitcnt lgkmcnt(0)
	s_barrier
	s_and_saveexec_b64 s[0:1], vcc
	s_cbranch_execz .LBB0_15
; %bb.14:
	v_mul_u32_u24_e32 v2, 3, v29
	v_lshlrev_b32_e32 v2, 3, v2
	global_load_dwordx2 v[26:27], v2, s[4:5] offset:736
	global_load_dwordx4 v[34:37], v2, s[4:5] offset:720
	v_mul_i32_i24_e32 v2, 3, v33
	v_lshl_add_u64 v[50:51], v[2:3], 3, s[4:5]
	v_mul_i32_i24_e32 v2, 3, v32
	v_lshl_add_u64 v[2:3], v[2:3], 3, s[4:5]
	ds_read2_b32 v[38:39], v5 offset0:96 offset1:128
	ds_read2_b32 v[40:41], v23 offset0:160 offset1:192
	ds_read_b32 v5, v20
	ds_read_b32 v13, v24
	ds_read2_b32 v[42:43], v23 offset0:96 offset1:128
	ds_read2_b32 v[44:45], v9 offset0:32 offset1:64
	ds_read_b32 v28, v23 offset:1408
	ds_read_b32 v19, v22
	global_load_dwordx4 v[20:23], v[2:3], off offset:720
	global_load_dwordx2 v[58:59], v[2:3], off offset:736
	v_mad_u64_u32 v[46:47], s[0:1], s8, v29, 0
	v_or_b32_e32 v9, 0x60, v29
	v_or_b32_e32 v60, 0xc0, v29
	v_mov_b32_e32 v24, v16
	v_mov_b32_e32 v16, v47
	v_mad_u64_u32 v[52:53], s[0:1], s8, v9, 0
	v_mad_u64_u32 v[54:55], s[0:1], s8, v60, 0
	;; [unrolled: 1-line block ×3, first 2 shown]
	v_mov_b32_e32 v16, v53
	v_mov_b32_e32 v33, v18
	v_mov_b32_e32 v32, v55
	v_mad_u64_u32 v[2:3], s[0:1], s9, v9, v[16:17]
	v_mov_b32_e32 v25, v7
	v_mov_b32_e32 v47, v56
	v_mad_u64_u32 v[56:57], s[0:1], s9, v60, v[32:33]
	v_mov_b32_e32 v53, v2
	s_waitcnt lgkmcnt(2)
	v_mov_b32_e32 v2, v44
	v_mov_b32_e32 v3, v41
	v_or_b32_e32 v66, 0x120, v29
	v_mov_b32_e32 v55, v56
	v_mad_u64_u32 v[48:49], s[0:1], s8, v31, 0
	v_lshl_add_u64 v[46:47], v[46:47], 3, v[0:1]
	v_or_b32_e32 v7, 0x80, v29
	v_mov_b32_e32 v9, v11
	s_waitcnt vmcnt(3)
	v_mov_b32_e32 v60, v26
	s_waitcnt vmcnt(2)
	v_mov_b32_e32 v61, v36
	v_mov_b32_e32 v36, v27
	v_pk_mul_f32 v[26:27], v[34:35], v[42:43] op_sel_hi:[1,0]
	v_pk_mul_f32 v[62:63], v[24:25], v[36:37]
	v_pk_fma_f32 v[64:65], v[14:15], v[34:35], v[26:27] op_sel:[0,0,1] op_sel_hi:[1,1,0] neg_lo:[0,0,1] neg_hi:[0,0,1]
	v_pk_fma_f32 v[34:35], v[14:15], v[34:35], v[26:27] op_sel:[0,0,1] op_sel_hi:[0,1,0]
	v_pk_mul_f32 v[26:27], v[2:3], v[36:37]
	v_pk_fma_f32 v[2:3], v[2:3], v[60:61], v[62:63]
	v_pk_fma_f32 v[60:61], v[24:25], v[60:61], v[26:27] neg_lo:[0,0,1] neg_hi:[0,0,1]
	global_load_dwordx4 v[24:27], v[50:51], off offset:720
	global_load_dwordx2 v[62:63], v[50:51], off offset:736
	v_mad_u64_u32 v[36:37], s[0:1], s8, v66, 0
	v_mov_b32_e32 v16, v37
	v_mad_u64_u32 v[50:51], s[0:1], s9, v66, v[16:17]
	v_mov_b32_e32 v37, v50
	v_lshl_add_u64 v[50:51], v[52:53], 3, v[0:1]
	v_lshl_add_u64 v[52:53], v[54:55], 3, v[0:1]
	s_waitcnt lgkmcnt(0)
	v_mov_b32_e32 v55, v19
	v_mov_b32_e32 v54, v35
	;; [unrolled: 1-line block ×3, first 2 shown]
	v_pk_add_f32 v[2:3], v[54:55], v[2:3] neg_lo:[0,1] neg_hi:[0,1]
	v_pk_add_f32 v[32:33], v[32:33], v[60:61] neg_lo:[0,1] neg_hi:[0,1]
	v_mov_b32_e32 v65, v35
	v_pk_add_f32 v[34:35], v[32:33], v[2:3] op_sel:[1,0] op_sel_hi:[0,1] neg_lo:[0,1] neg_hi:[0,1]
	v_pk_add_f32 v[54:55], v[32:33], v[2:3] op_sel:[1,0] op_sel_hi:[0,1]
	v_mov_b32_e32 v56, v33
	v_mov_b32_e32 v57, v3
	;; [unrolled: 1-line block ×3, first 2 shown]
	v_pk_fma_f32 v[2:3], v[18:19], 2.0, v[56:57] op_sel_hi:[1,0,1] neg_lo:[0,0,1] neg_hi:[0,0,1]
	v_pk_fma_f32 v[18:19], v[64:65], 2.0, v[32:33] op_sel_hi:[1,0,1] neg_lo:[0,0,1] neg_hi:[0,0,1]
	v_mov_b32_e32 v35, v55
	v_pk_add_f32 v[18:19], v[2:3], v[18:19] neg_lo:[0,1] neg_hi:[0,1]
	v_mov_b32_e32 v14, v49
	v_pk_fma_f32 v[2:3], v[2:3], 2.0, v[18:19] op_sel_hi:[1,0,1] neg_lo:[0,0,1] neg_hi:[0,0,1]
	v_lshl_add_u64 v[36:37], v[36:37], 3, v[0:1]
	v_pk_fma_f32 v[32:33], v[56:57], 2.0, v[34:35] op_sel_hi:[1,0,1] neg_lo:[0,0,1] neg_hi:[0,0,1]
	global_store_dwordx2 v[46:47], v[2:3], off
	global_store_dwordx2 v[50:51], v[32:33], off
	global_store_dwordx2 v[52:53], v[18:19], off
	global_store_dwordx2 v[36:37], v[34:35], off
	v_mad_u64_u32 v[18:19], s[0:1], s8, v7, 0
	v_mad_u64_u32 v[2:3], s[0:1], s9, v31, v[14:15]
	v_mov_b32_e32 v14, v19
	v_mad_u64_u32 v[32:33], s[0:1], s9, v7, v[14:15]
	v_or_b32_e32 v7, 0xe0, v29
	v_mov_b32_e32 v19, v32
	v_mad_u64_u32 v[32:33], s[0:1], s8, v7, 0
	v_mov_b32_e32 v14, v33
	v_mad_u64_u32 v[34:35], s[0:1], s9, v7, v[14:15]
	v_or_b32_e32 v7, 0x140, v29
	v_mov_b32_e32 v33, v34
	v_mad_u64_u32 v[34:35], s[0:1], s8, v7, 0
	v_mov_b32_e32 v14, v35
	v_mad_u64_u32 v[36:37], s[0:1], s9, v7, v[14:15]
	v_mov_b32_e32 v35, v36
	v_mov_b32_e32 v36, v45
	;; [unrolled: 1-line block ×3, first 2 shown]
	s_waitcnt vmcnt(7)
	v_mov_b32_e32 v45, v22
	v_mov_b32_e32 v16, v17
	;; [unrolled: 1-line block ×3, first 2 shown]
	s_waitcnt vmcnt(6)
	v_mov_b32_e32 v22, v59
	v_mov_b32_e32 v44, v58
	v_pk_mul_f32 v[46:47], v[16:17], v[22:23]
	v_pk_mul_f32 v[22:23], v[36:37], v[22:23]
	v_mov_b32_e32 v10, v43
	v_pk_fma_f32 v[16:17], v[16:17], v[44:45], v[22:23] neg_lo:[0,0,1] neg_hi:[0,0,1]
	v_pk_mul_f32 v[22:23], v[20:21], v[10:11] op_sel_hi:[1,0]
	v_mov_b32_e32 v10, v15
	v_mov_b32_e32 v14, v15
	v_pk_fma_f32 v[46:47], v[36:37], v[44:45], v[46:47]
	v_pk_fma_f32 v[36:37], v[10:11], v[20:21], v[22:23] op_sel:[0,0,1] op_sel_hi:[1,1,0] neg_lo:[0,0,1] neg_hi:[0,0,1]
	v_pk_fma_f32 v[14:15], v[14:15], v[20:21], v[22:23] op_sel:[0,0,1] op_sel_hi:[0,1,0]
	v_mov_b32_e32 v37, v15
	v_mov_b32_e32 v14, v15
	;; [unrolled: 1-line block ×5, first 2 shown]
	v_pk_add_f32 v[14:15], v[14:15], v[46:47] neg_lo:[0,1] neg_hi:[0,1]
	v_pk_add_f32 v[16:17], v[20:21], v[16:17] neg_lo:[0,1] neg_hi:[0,1]
	v_mov_b32_e32 v49, v2
	v_pk_add_f32 v[20:21], v[16:17], v[14:15] op_sel:[1,0] op_sel_hi:[0,1] neg_lo:[0,1] neg_hi:[0,1]
	v_pk_add_f32 v[22:23], v[16:17], v[14:15] op_sel:[1,0] op_sel_hi:[0,1]
	v_mov_b32_e32 v21, v23
	v_mov_b32_e32 v22, v17
	v_mov_b32_e32 v23, v15
	v_mov_b32_e32 v17, v14
	v_pk_fma_f32 v[12:13], v[12:13], 2.0, v[22:23] op_sel_hi:[1,0,1] neg_lo:[0,0,1] neg_hi:[0,0,1]
	v_pk_fma_f32 v[14:15], v[36:37], 2.0, v[16:17] op_sel_hi:[1,0,1] neg_lo:[0,0,1] neg_hi:[0,0,1]
	v_lshl_add_u64 v[2:3], v[48:49], 3, v[0:1]
	v_pk_add_f32 v[14:15], v[12:13], v[14:15] neg_lo:[0,1] neg_hi:[0,1]
	v_lshl_add_u64 v[18:19], v[18:19], 3, v[0:1]
	v_pk_fma_f32 v[12:13], v[12:13], 2.0, v[14:15] op_sel_hi:[1,0,1] neg_lo:[0,0,1] neg_hi:[0,0,1]
	global_store_dwordx2 v[2:3], v[12:13], off
	v_pk_fma_f32 v[2:3], v[22:23], 2.0, v[20:21] op_sel_hi:[1,0,1] neg_lo:[0,0,1] neg_hi:[0,0,1]
	v_lshl_add_u64 v[32:33], v[32:33], 3, v[0:1]
	v_lshl_add_u64 v[34:35], v[34:35], 3, v[0:1]
	global_store_dwordx2 v[18:19], v[2:3], off
	global_store_dwordx2 v[32:33], v[14:15], off
	;; [unrolled: 1-line block ×3, first 2 shown]
	v_mad_u64_u32 v[2:3], s[0:1], s8, v30, 0
	v_mov_b32_e32 v10, v3
	v_mad_u64_u32 v[12:13], s[0:1], s9, v30, v[10:11]
	v_or_b32_e32 v7, 0xa0, v29
	v_mov_b32_e32 v3, v12
	v_mad_u64_u32 v[12:13], s[0:1], s8, v7, 0
	v_mov_b32_e32 v10, v13
	v_mad_u64_u32 v[14:15], s[0:1], s9, v7, v[10:11]
	v_or_b32_e32 v7, 0x100, v29
	v_mov_b32_e32 v13, v14
	;; [unrolled: 5-line block ×3, first 2 shown]
	v_mad_u64_u32 v[16:17], s[0:1], s8, v7, 0
	v_mov_b32_e32 v10, v17
	v_mad_u64_u32 v[18:19], s[0:1], s9, v7, v[10:11]
	v_mov_b32_e32 v17, v18
	v_lshl_add_u64 v[2:3], v[2:3], 3, v[0:1]
	v_lshl_add_u64 v[12:13], v[12:13], 3, v[0:1]
	;; [unrolled: 1-line block ×4, first 2 shown]
	v_mov_b32_e32 v29, v39
	s_waitcnt vmcnt(9)
	v_mov_b32_e32 v17, v26
	s_waitcnt vmcnt(8)
	v_mov_b32_e32 v26, v63
	v_mov_b32_e32 v16, v62
	v_pk_mul_f32 v[10:11], v[8:9], v[26:27]
	v_pk_mul_f32 v[18:19], v[28:29], v[26:27]
	v_pk_fma_f32 v[10:11], v[28:29], v[16:17], v[10:11]
	v_pk_fma_f32 v[8:9], v[8:9], v[16:17], v[18:19] neg_lo:[0,0,1] neg_hi:[0,0,1]
	v_pk_mul_f32 v[16:17], v[24:25], v[40:41] op_sel_hi:[1,0]
	s_nop 0
	v_pk_fma_f32 v[18:19], v[6:7], v[24:25], v[16:17] op_sel:[0,0,1] op_sel_hi:[1,1,0] neg_lo:[0,0,1] neg_hi:[0,0,1]
	v_pk_fma_f32 v[6:7], v[6:7], v[24:25], v[16:17] op_sel:[0,0,1] op_sel_hi:[0,1,0]
	v_mov_b32_e32 v19, v7
	v_mov_b32_e32 v6, v7
	;; [unrolled: 1-line block ×3, first 2 shown]
	v_pk_add_f32 v[6:7], v[6:7], v[10:11] neg_lo:[0,1] neg_hi:[0,1]
	v_mov_b32_e32 v10, v18
	v_mov_b32_e32 v11, v4
	v_pk_add_f32 v[8:9], v[10:11], v[8:9] neg_lo:[0,1] neg_hi:[0,1]
	s_nop 0
	v_pk_add_f32 v[10:11], v[8:9], v[6:7] op_sel:[1,0] op_sel_hi:[0,1] neg_lo:[0,1] neg_hi:[0,1]
	v_pk_add_f32 v[16:17], v[8:9], v[6:7] op_sel:[1,0] op_sel_hi:[0,1]
	v_mov_b32_e32 v11, v17
	v_mov_b32_e32 v16, v9
	;; [unrolled: 1-line block ×4, first 2 shown]
	v_pk_fma_f32 v[4:5], v[4:5], 2.0, v[16:17] op_sel_hi:[1,0,1] neg_lo:[0,0,1] neg_hi:[0,0,1]
	v_pk_fma_f32 v[6:7], v[18:19], 2.0, v[8:9] op_sel_hi:[1,0,1] neg_lo:[0,0,1] neg_hi:[0,0,1]
	s_nop 0
	v_pk_add_f32 v[6:7], v[4:5], v[6:7] neg_lo:[0,1] neg_hi:[0,1]
	s_nop 0
	v_pk_fma_f32 v[4:5], v[4:5], 2.0, v[6:7] op_sel_hi:[1,0,1] neg_lo:[0,0,1] neg_hi:[0,0,1]
	global_store_dwordx2 v[2:3], v[4:5], off
	v_pk_fma_f32 v[2:3], v[16:17], 2.0, v[10:11] op_sel_hi:[1,0,1] neg_lo:[0,0,1] neg_hi:[0,0,1]
	global_store_dwordx2 v[12:13], v[2:3], off
	global_store_dwordx2 v[14:15], v[6:7], off
	global_store_dwordx2 v[0:1], v[10:11], off
.LBB0_15:
	s_endpgm
	.section	.rodata,"a",@progbits
	.p2align	6, 0x0
	.amdhsa_kernel fft_rtc_fwd_len384_factors_6_4_4_4_wgs_128_tpt_32_halfLds_sp_ip_CI_sbrr_dirReg
		.amdhsa_group_segment_fixed_size 0
		.amdhsa_private_segment_fixed_size 0
		.amdhsa_kernarg_size 88
		.amdhsa_user_sgpr_count 2
		.amdhsa_user_sgpr_dispatch_ptr 0
		.amdhsa_user_sgpr_queue_ptr 0
		.amdhsa_user_sgpr_kernarg_segment_ptr 1
		.amdhsa_user_sgpr_dispatch_id 0
		.amdhsa_user_sgpr_kernarg_preload_length 0
		.amdhsa_user_sgpr_kernarg_preload_offset 0
		.amdhsa_user_sgpr_private_segment_size 0
		.amdhsa_uses_dynamic_stack 0
		.amdhsa_enable_private_segment 0
		.amdhsa_system_sgpr_workgroup_id_x 1
		.amdhsa_system_sgpr_workgroup_id_y 0
		.amdhsa_system_sgpr_workgroup_id_z 0
		.amdhsa_system_sgpr_workgroup_info 0
		.amdhsa_system_vgpr_workitem_id 0
		.amdhsa_next_free_vgpr 67
		.amdhsa_next_free_sgpr 24
		.amdhsa_accum_offset 68
		.amdhsa_reserve_vcc 1
		.amdhsa_float_round_mode_32 0
		.amdhsa_float_round_mode_16_64 0
		.amdhsa_float_denorm_mode_32 3
		.amdhsa_float_denorm_mode_16_64 3
		.amdhsa_dx10_clamp 1
		.amdhsa_ieee_mode 1
		.amdhsa_fp16_overflow 0
		.amdhsa_tg_split 0
		.amdhsa_exception_fp_ieee_invalid_op 0
		.amdhsa_exception_fp_denorm_src 0
		.amdhsa_exception_fp_ieee_div_zero 0
		.amdhsa_exception_fp_ieee_overflow 0
		.amdhsa_exception_fp_ieee_underflow 0
		.amdhsa_exception_fp_ieee_inexact 0
		.amdhsa_exception_int_div_zero 0
	.end_amdhsa_kernel
	.text
.Lfunc_end0:
	.size	fft_rtc_fwd_len384_factors_6_4_4_4_wgs_128_tpt_32_halfLds_sp_ip_CI_sbrr_dirReg, .Lfunc_end0-fft_rtc_fwd_len384_factors_6_4_4_4_wgs_128_tpt_32_halfLds_sp_ip_CI_sbrr_dirReg
                                        ; -- End function
	.section	.AMDGPU.csdata,"",@progbits
; Kernel info:
; codeLenInByte = 6108
; NumSgprs: 30
; NumVgprs: 67
; NumAgprs: 0
; TotalNumVgprs: 67
; ScratchSize: 0
; MemoryBound: 0
; FloatMode: 240
; IeeeMode: 1
; LDSByteSize: 0 bytes/workgroup (compile time only)
; SGPRBlocks: 3
; VGPRBlocks: 8
; NumSGPRsForWavesPerEU: 30
; NumVGPRsForWavesPerEU: 67
; AccumOffset: 68
; Occupancy: 7
; WaveLimiterHint : 1
; COMPUTE_PGM_RSRC2:SCRATCH_EN: 0
; COMPUTE_PGM_RSRC2:USER_SGPR: 2
; COMPUTE_PGM_RSRC2:TRAP_HANDLER: 0
; COMPUTE_PGM_RSRC2:TGID_X_EN: 1
; COMPUTE_PGM_RSRC2:TGID_Y_EN: 0
; COMPUTE_PGM_RSRC2:TGID_Z_EN: 0
; COMPUTE_PGM_RSRC2:TIDIG_COMP_CNT: 0
; COMPUTE_PGM_RSRC3_GFX90A:ACCUM_OFFSET: 16
; COMPUTE_PGM_RSRC3_GFX90A:TG_SPLIT: 0
	.text
	.p2alignl 6, 3212836864
	.fill 256, 4, 3212836864
	.type	__hip_cuid_e79371e91959f277,@object ; @__hip_cuid_e79371e91959f277
	.section	.bss,"aw",@nobits
	.globl	__hip_cuid_e79371e91959f277
__hip_cuid_e79371e91959f277:
	.byte	0                               ; 0x0
	.size	__hip_cuid_e79371e91959f277, 1

	.ident	"AMD clang version 19.0.0git (https://github.com/RadeonOpenCompute/llvm-project roc-6.4.0 25133 c7fe45cf4b819c5991fe208aaa96edf142730f1d)"
	.section	".note.GNU-stack","",@progbits
	.addrsig
	.addrsig_sym __hip_cuid_e79371e91959f277
	.amdgpu_metadata
---
amdhsa.kernels:
  - .agpr_count:     0
    .args:
      - .actual_access:  read_only
        .address_space:  global
        .offset:         0
        .size:           8
        .value_kind:     global_buffer
      - .offset:         8
        .size:           8
        .value_kind:     by_value
      - .actual_access:  read_only
        .address_space:  global
        .offset:         16
        .size:           8
        .value_kind:     global_buffer
      - .actual_access:  read_only
        .address_space:  global
        .offset:         24
        .size:           8
        .value_kind:     global_buffer
      - .offset:         32
        .size:           8
        .value_kind:     by_value
      - .actual_access:  read_only
        .address_space:  global
        .offset:         40
        .size:           8
        .value_kind:     global_buffer
      - .actual_access:  read_only
        .address_space:  global
        .offset:         48
        .size:           8
        .value_kind:     global_buffer
      - .offset:         56
        .size:           4
        .value_kind:     by_value
      - .actual_access:  read_only
        .address_space:  global
        .offset:         64
        .size:           8
        .value_kind:     global_buffer
      - .actual_access:  read_only
        .address_space:  global
        .offset:         72
        .size:           8
        .value_kind:     global_buffer
      - .address_space:  global
        .offset:         80
        .size:           8
        .value_kind:     global_buffer
    .group_segment_fixed_size: 0
    .kernarg_segment_align: 8
    .kernarg_segment_size: 88
    .language:       OpenCL C
    .language_version:
      - 2
      - 0
    .max_flat_workgroup_size: 128
    .name:           fft_rtc_fwd_len384_factors_6_4_4_4_wgs_128_tpt_32_halfLds_sp_ip_CI_sbrr_dirReg
    .private_segment_fixed_size: 0
    .sgpr_count:     30
    .sgpr_spill_count: 0
    .symbol:         fft_rtc_fwd_len384_factors_6_4_4_4_wgs_128_tpt_32_halfLds_sp_ip_CI_sbrr_dirReg.kd
    .uniform_work_group_size: 1
    .uses_dynamic_stack: false
    .vgpr_count:     67
    .vgpr_spill_count: 0
    .wavefront_size: 64
amdhsa.target:   amdgcn-amd-amdhsa--gfx950
amdhsa.version:
  - 1
  - 2
...

	.end_amdgpu_metadata
